;; amdgpu-corpus repo=ROCm/rocFFT kind=compiled arch=gfx950 opt=O3
	.text
	.amdgcn_target "amdgcn-amd-amdhsa--gfx950"
	.amdhsa_code_object_version 6
	.protected	bluestein_single_back_len48_dim1_dp_op_CI_CI ; -- Begin function bluestein_single_back_len48_dim1_dp_op_CI_CI
	.globl	bluestein_single_back_len48_dim1_dp_op_CI_CI
	.p2align	8
	.type	bluestein_single_back_len48_dim1_dp_op_CI_CI,@function
bluestein_single_back_len48_dim1_dp_op_CI_CI: ; @bluestein_single_back_len48_dim1_dp_op_CI_CI
; %bb.0:
	s_load_dwordx4 s[8:11], s[0:1], 0x28
	v_lshrrev_b32_e32 v1, 4, v0
	v_lshl_or_b32 v36, s2, 2, v1
	v_mov_b32_e32 v37, 0
	s_waitcnt lgkmcnt(0)
	v_cmp_gt_u64_e32 vcc, s[8:9], v[36:37]
	s_and_saveexec_b64 s[2:3], vcc
	s_cbranch_execz .LBB0_23
; %bb.1:
	s_load_dwordx2 s[12:13], s[0:1], 0x0
	s_load_dwordx2 s[8:9], s[0:1], 0x38
	v_and_b32_e32 v37, 15, v0
	v_mul_u32_u24_e32 v42, 48, v1
	v_cmp_gt_u32_e32 vcc, 12, v37
	v_lshlrev_b32_e32 v43, 4, v37
	v_or_b32_e32 v18, v42, v37
	s_and_saveexec_b64 s[2:3], vcc
	s_cbranch_execz .LBB0_3
; %bb.2:
	s_load_dwordx2 s[4:5], s[0:1], 0x18
	v_mov_b32_e32 v0, s10
	v_mov_b32_e32 v1, s11
	;; [unrolled: 1-line block ×3, first 2 shown]
	s_waitcnt lgkmcnt(0)
	s_load_dwordx4 s[4:7], s[4:5], 0x0
	s_waitcnt lgkmcnt(0)
	v_mad_u64_u32 v[2:3], s[10:11], s6, v36, 0
	v_mad_u64_u32 v[4:5], s[10:11], s4, v37, 0
	v_mov_b32_e32 v6, v3
	v_mov_b32_e32 v8, v5
	v_mad_u64_u32 v[6:7], s[6:7], s7, v36, v[6:7]
	v_mov_b32_e32 v3, v6
	v_mad_u64_u32 v[6:7], s[6:7], s5, v37, v[8:9]
	v_mov_b32_e32 v5, v6
	v_lshl_add_u64 v[0:1], v[2:3], 4, v[0:1]
	v_lshl_add_u64 v[8:9], v[4:5], 4, v[0:1]
	v_mad_u64_u32 v[16:17], s[6:7], s4, v19, v[8:9]
	s_mul_i32 s10, s5, 0xc0
	global_load_dwordx4 v[0:3], v[8:9], off
	global_load_dwordx4 v[4:7], v43, s[12:13]
	v_add_u32_e32 v17, s10, v17
	global_load_dwordx4 v[8:11], v43, s[12:13] offset:192
	global_load_dwordx4 v[12:15], v[16:17], off
	v_mad_u64_u32 v[16:17], s[6:7], s4, v19, v[16:17]
	v_add_u32_e32 v17, s10, v17
	global_load_dwordx4 v[20:23], v[16:17], off
	global_load_dwordx4 v[24:27], v43, s[12:13] offset:384
	v_mad_u64_u32 v[16:17], s[4:5], s4, v19, v[16:17]
	v_add_u32_e32 v17, s10, v17
	global_load_dwordx4 v[28:31], v43, s[12:13] offset:576
	global_load_dwordx4 v[32:35], v[16:17], off
	v_lshlrev_b32_e32 v16, 4, v18
	v_lshl_add_u32 v17, v42, 4, v43
	s_waitcnt vmcnt(6)
	v_mul_f64 v[38:39], v[2:3], v[6:7]
	v_mul_f64 v[6:7], v[0:1], v[6:7]
	v_fmac_f64_e32 v[38:39], v[0:1], v[4:5]
	v_fma_f64 v[40:41], v[2:3], v[4:5], -v[6:7]
	s_waitcnt vmcnt(4)
	v_mul_f64 v[0:1], v[14:15], v[10:11]
	v_mul_f64 v[2:3], v[12:13], v[10:11]
	v_fmac_f64_e32 v[0:1], v[12:13], v[8:9]
	v_fma_f64 v[2:3], v[14:15], v[8:9], -v[2:3]
	ds_write_b128 v16, v[38:41]
	ds_write_b128 v17, v[0:3] offset:192
	s_waitcnt vmcnt(2)
	v_mul_f64 v[0:1], v[22:23], v[26:27]
	v_mul_f64 v[2:3], v[20:21], v[26:27]
	v_fmac_f64_e32 v[0:1], v[20:21], v[24:25]
	v_fma_f64 v[2:3], v[22:23], v[24:25], -v[2:3]
	ds_write_b128 v17, v[0:3] offset:384
	s_waitcnt vmcnt(0)
	v_mul_f64 v[0:1], v[34:35], v[30:31]
	v_mul_f64 v[2:3], v[32:33], v[30:31]
	v_fmac_f64_e32 v[0:1], v[32:33], v[28:29]
	v_fma_f64 v[2:3], v[34:35], v[28:29], -v[2:3]
	ds_write_b128 v17, v[0:3] offset:576
.LBB0_3:
	s_or_b64 exec, exec, s[2:3]
	s_load_dwordx2 s[2:3], s[0:1], 0x20
	s_load_dwordx2 s[4:5], s[0:1], 0x8
	v_lshlrev_b32_e32 v44, 4, v42
	s_waitcnt lgkmcnt(0)
	; wave barrier
	s_waitcnt lgkmcnt(0)
                                        ; implicit-def: $vgpr0_vgpr1
                                        ; implicit-def: $vgpr12_vgpr13
                                        ; implicit-def: $vgpr8_vgpr9
                                        ; implicit-def: $vgpr4_vgpr5
	s_and_saveexec_b64 s[0:1], vcc
	s_cbranch_execz .LBB0_5
; %bb.4:
	v_lshlrev_b32_e32 v0, 4, v18
	v_lshl_add_u32 v12, v37, 4, v44
	ds_read_b128 v[0:3], v0
	ds_read_b128 v[4:7], v12 offset:192
	ds_read_b128 v[8:11], v12 offset:384
	;; [unrolled: 1-line block ×3, first 2 shown]
.LBB0_5:
	s_or_b64 exec, exec, s[0:1]
	s_waitcnt lgkmcnt(0)
	v_add_f64 v[8:9], v[0:1], -v[8:9]
	v_add_f64 v[16:17], v[2:3], -v[10:11]
	;; [unrolled: 1-line block ×5, first 2 shown]
	v_add_f64 v[22:23], v[16:17], v[10:11]
	v_lshlrev_b32_e32 v46, 2, v37
	s_waitcnt lgkmcnt(0)
	; wave barrier
	s_and_saveexec_b64 s[0:1], vcc
	s_cbranch_execz .LBB0_7
; %bb.6:
	v_fma_f64 v[24:25], v[8:9], 2.0, -v[20:21]
	v_fma_f64 v[14:15], v[2:3], 2.0, -v[16:17]
	;; [unrolled: 1-line block ×5, first 2 shown]
	v_add_f64 v[2:3], v[14:15], -v[2:3]
	v_add_f64 v[0:1], v[8:9], -v[0:1]
	v_fma_f64 v[6:7], v[14:15], 2.0, -v[2:3]
	v_fma_f64 v[4:5], v[8:9], 2.0, -v[0:1]
	v_add_lshl_u32 v8, v42, v46, 4
	v_fma_f64 v[26:27], v[16:17], 2.0, -v[22:23]
	ds_write_b128 v8, v[4:7]
	ds_write_b128 v8, v[24:27] offset:16
	ds_write_b128 v8, v[0:3] offset:32
	ds_write_b128 v8, v[20:23] offset:48
.LBB0_7:
	s_or_b64 exec, exec, s[0:1]
	v_and_b32_e32 v16, 3, v37
	v_lshlrev_b32_e32 v8, 5, v16
	s_load_dwordx4 s[0:3], s[2:3], 0x0
	s_waitcnt lgkmcnt(0)
	; wave barrier
	s_waitcnt lgkmcnt(0)
	global_load_dwordx4 v[4:7], v8, s[4:5]
	global_load_dwordx4 v[0:3], v8, s[4:5] offset:16
	v_lshlrev_b32_e32 v45, 4, v18
	ds_read_b128 v[28:31], v45
	ds_read_b128 v[8:11], v45 offset:256
	ds_read_b128 v[12:15], v45 offset:512
	v_lshrrev_b32_e32 v17, 2, v37
	v_mul_u32_u24_e32 v17, 12, v17
	v_or_b32_e32 v16, v17, v16
	v_add_lshl_u32 v47, v42, v16, 4
	s_mov_b32 s6, 0xe8584caa
	s_mov_b32 s7, 0x3febb67a
	;; [unrolled: 1-line block ×4, first 2 shown]
	s_waitcnt lgkmcnt(0)
	; wave barrier
	s_waitcnt vmcnt(1) lgkmcnt(0)
	v_mul_f64 v[16:17], v[10:11], v[6:7]
	v_mul_f64 v[18:19], v[8:9], v[6:7]
	s_waitcnt vmcnt(0)
	v_mul_f64 v[24:25], v[14:15], v[2:3]
	v_mul_f64 v[26:27], v[12:13], v[2:3]
	v_fma_f64 v[8:9], v[8:9], v[4:5], -v[16:17]
	v_fmac_f64_e32 v[18:19], v[10:11], v[4:5]
	v_fma_f64 v[10:11], v[12:13], v[0:1], -v[24:25]
	v_fmac_f64_e32 v[26:27], v[14:15], v[0:1]
	v_add_f64 v[14:15], v[8:9], v[10:11]
	v_add_f64 v[16:17], v[18:19], -v[26:27]
	v_add_f64 v[32:33], v[30:31], v[18:19]
	v_add_f64 v[18:19], v[18:19], v[26:27]
	;; [unrolled: 1-line block ×3, first 2 shown]
	v_add_f64 v[8:9], v[8:9], -v[10:11]
	v_fmac_f64_e32 v[28:29], -0.5, v[14:15]
	v_fmac_f64_e32 v[30:31], -0.5, v[18:19]
	v_add_f64 v[24:25], v[12:13], v[10:11]
	v_add_f64 v[26:27], v[32:33], v[26:27]
	v_fma_f64 v[32:33], s[6:7], v[16:17], v[28:29]
	v_fmac_f64_e32 v[28:29], s[10:11], v[16:17]
	v_fma_f64 v[34:35], s[10:11], v[8:9], v[30:31]
	v_fmac_f64_e32 v[30:31], s[6:7], v[8:9]
	ds_write_b128 v47, v[24:27]
	ds_write_b128 v47, v[32:35] offset:64
	ds_write_b128 v47, v[28:31] offset:128
	s_waitcnt lgkmcnt(0)
	; wave barrier
	s_waitcnt lgkmcnt(0)
	s_and_saveexec_b64 s[6:7], vcc
	s_cbranch_execz .LBB0_9
; %bb.8:
	ds_read_b128 v[24:27], v45
	ds_read_b128 v[32:35], v45 offset:192
	ds_read_b128 v[28:31], v45 offset:384
	;; [unrolled: 1-line block ×3, first 2 shown]
.LBB0_9:
	s_or_b64 exec, exec, s[6:7]
	v_add_u32_e32 v8, -12, v37
	v_cndmask_b32_e32 v8, v8, v37, vcc
	v_mul_hi_i32_i24_e32 v9, 48, v8
	v_mul_i32_i24_e32 v8, 48, v8
	v_lshl_add_u64 v[38:39], s[4:5], 0, v[8:9]
	global_load_dwordx4 v[12:15], v[38:39], off offset:128
	global_load_dwordx4 v[16:19], v[38:39], off offset:144
	;; [unrolled: 1-line block ×3, first 2 shown]
	s_waitcnt vmcnt(2) lgkmcnt(2)
	v_mul_f64 v[38:39], v[34:35], v[14:15]
	v_mul_f64 v[40:41], v[32:33], v[14:15]
	s_waitcnt vmcnt(1) lgkmcnt(1)
	v_mul_f64 v[48:49], v[30:31], v[18:19]
	v_mul_f64 v[50:51], v[28:29], v[18:19]
	;; [unrolled: 3-line block ×3, first 2 shown]
	v_fma_f64 v[32:33], v[32:33], v[12:13], -v[38:39]
	v_fmac_f64_e32 v[40:41], v[34:35], v[12:13]
	v_fma_f64 v[28:29], v[28:29], v[16:17], -v[48:49]
	v_fmac_f64_e32 v[50:51], v[30:31], v[16:17]
	;; [unrolled: 2-line block ×3, first 2 shown]
	v_add_f64 v[22:23], v[24:25], -v[28:29]
	v_add_f64 v[38:39], v[26:27], -v[50:51]
	;; [unrolled: 1-line block ×4, first 2 shown]
	v_fma_f64 v[24:25], v[24:25], 2.0, -v[22:23]
	v_fma_f64 v[26:27], v[26:27], 2.0, -v[38:39]
	v_fma_f64 v[30:31], v[32:33], 2.0, -v[20:21]
	v_fma_f64 v[40:41], v[40:41], 2.0, -v[28:29]
	v_add_f64 v[32:33], v[22:23], -v[28:29]
	v_add_f64 v[34:35], v[38:39], v[20:21]
	v_add_f64 v[28:29], v[24:25], -v[30:31]
	v_add_f64 v[30:31], v[26:27], -v[40:41]
	v_fma_f64 v[20:21], v[22:23], 2.0, -v[32:33]
	v_fma_f64 v[24:25], v[24:25], 2.0, -v[28:29]
	;; [unrolled: 1-line block ×4, first 2 shown]
	s_and_saveexec_b64 s[4:5], vcc
	s_cbranch_execz .LBB0_11
; %bb.10:
	v_lshl_add_u32 v38, v37, 4, v44
	ds_write_b128 v45, v[24:27]
	ds_write_b128 v38, v[20:23] offset:192
	ds_write_b128 v38, v[28:31] offset:384
	;; [unrolled: 1-line block ×3, first 2 shown]
.LBB0_11:
	s_or_b64 exec, exec, s[4:5]
	s_waitcnt lgkmcnt(0)
	; wave barrier
	s_waitcnt lgkmcnt(0)
	s_and_saveexec_b64 s[4:5], vcc
	s_cbranch_execz .LBB0_13
; %bb.12:
	global_load_dwordx4 v[38:41], v43, s[12:13] offset:768
	s_add_u32 s6, s12, 0x300
	s_addc_u32 s7, s13, 0
	global_load_dwordx4 v[48:51], v43, s[6:7] offset:192
	global_load_dwordx4 v[52:55], v43, s[6:7] offset:384
	;; [unrolled: 1-line block ×3, first 2 shown]
	ds_read_b128 v[60:63], v45
	v_lshl_add_u32 v76, v42, 4, v43
	s_waitcnt vmcnt(3) lgkmcnt(0)
	v_mul_f64 v[64:65], v[62:63], v[40:41]
	v_mul_f64 v[66:67], v[60:61], v[40:41]
	v_fma_f64 v[64:65], v[60:61], v[38:39], -v[64:65]
	v_fmac_f64_e32 v[66:67], v[62:63], v[38:39]
	ds_write_b128 v45, v[64:67]
	ds_read_b128 v[38:41], v76 offset:192
	ds_read_b128 v[60:63], v76 offset:384
	;; [unrolled: 1-line block ×3, first 2 shown]
	s_waitcnt vmcnt(2) lgkmcnt(2)
	v_mul_f64 v[68:69], v[40:41], v[50:51]
	v_mul_f64 v[70:71], v[38:39], v[50:51]
	s_waitcnt vmcnt(1) lgkmcnt(1)
	v_mul_f64 v[72:73], v[62:63], v[54:55]
	v_mul_f64 v[50:51], v[60:61], v[54:55]
	s_waitcnt vmcnt(0) lgkmcnt(0)
	v_mul_f64 v[74:75], v[66:67], v[58:59]
	v_mul_f64 v[54:55], v[64:65], v[58:59]
	v_fma_f64 v[68:69], v[38:39], v[48:49], -v[68:69]
	v_fmac_f64_e32 v[70:71], v[40:41], v[48:49]
	v_fma_f64 v[48:49], v[60:61], v[52:53], -v[72:73]
	v_fmac_f64_e32 v[50:51], v[62:63], v[52:53]
	;; [unrolled: 2-line block ×3, first 2 shown]
	ds_write_b128 v76, v[68:71] offset:192
	ds_write_b128 v76, v[48:51] offset:384
	;; [unrolled: 1-line block ×3, first 2 shown]
.LBB0_13:
	s_or_b64 exec, exec, s[4:5]
	s_waitcnt lgkmcnt(0)
	; wave barrier
	s_waitcnt lgkmcnt(0)
	s_and_saveexec_b64 s[4:5], vcc
	s_cbranch_execz .LBB0_15
; %bb.14:
	v_lshl_add_u32 v32, v37, 4, v44
	ds_read_b128 v[24:27], v45
	ds_read_b128 v[20:23], v32 offset:192
	ds_read_b128 v[28:31], v32 offset:384
	;; [unrolled: 1-line block ×3, first 2 shown]
.LBB0_15:
	s_or_b64 exec, exec, s[4:5]
	s_waitcnt lgkmcnt(1)
	v_add_f64 v[38:39], v[24:25], -v[28:29]
	v_add_f64 v[40:41], v[26:27], -v[30:31]
	s_waitcnt lgkmcnt(0)
	v_add_f64 v[32:33], v[20:21], -v[32:33]
	v_add_f64 v[34:35], v[22:23], -v[34:35]
	v_add_f64 v[28:29], v[38:39], v[34:35]
	v_add_f64 v[30:31], v[40:41], -v[32:33]
	s_waitcnt lgkmcnt(0)
	; wave barrier
	s_and_saveexec_b64 s[4:5], vcc
	s_cbranch_execz .LBB0_17
; %bb.16:
	v_fma_f64 v[26:27], v[26:27], 2.0, -v[40:41]
	v_fma_f64 v[22:23], v[22:23], 2.0, -v[34:35]
	;; [unrolled: 1-line block ×4, first 2 shown]
	v_add_f64 v[22:23], v[26:27], -v[22:23]
	v_add_f64 v[20:21], v[24:25], -v[20:21]
	v_fma_f64 v[26:27], v[26:27], 2.0, -v[22:23]
	v_fma_f64 v[24:25], v[24:25], 2.0, -v[20:21]
	v_add_lshl_u32 v32, v42, v46, 4
	v_fma_f64 v[50:51], v[40:41], 2.0, -v[30:31]
	v_fma_f64 v[48:49], v[38:39], 2.0, -v[28:29]
	ds_write_b128 v32, v[24:27]
	ds_write_b128 v32, v[48:51] offset:16
	ds_write_b128 v32, v[20:23] offset:32
	;; [unrolled: 1-line block ×3, first 2 shown]
.LBB0_17:
	s_or_b64 exec, exec, s[4:5]
	s_waitcnt lgkmcnt(0)
	; wave barrier
	s_waitcnt lgkmcnt(0)
	ds_read_b128 v[24:27], v45 offset:256
	ds_read_b128 v[20:23], v45
	ds_read_b128 v[32:35], v45 offset:512
	s_mov_b32 s4, 0xe8584caa
	s_mov_b32 s5, 0xbfebb67a
	s_waitcnt lgkmcnt(2)
	v_mul_f64 v[38:39], v[6:7], v[26:27]
	v_fmac_f64_e32 v[38:39], v[4:5], v[24:25]
	v_mul_f64 v[6:7], v[6:7], v[24:25]
	s_waitcnt lgkmcnt(0)
	v_mul_f64 v[24:25], v[2:3], v[34:35]
	v_fmac_f64_e32 v[24:25], v[0:1], v[32:33]
	v_mul_f64 v[2:3], v[2:3], v[32:33]
	v_fma_f64 v[6:7], v[4:5], v[26:27], -v[6:7]
	v_fma_f64 v[26:27], v[0:1], v[34:35], -v[2:3]
	v_add_f64 v[2:3], v[38:39], v[24:25]
	v_add_f64 v[0:1], v[20:21], v[38:39]
	v_fmac_f64_e32 v[20:21], -0.5, v[2:3]
	v_add_f64 v[2:3], v[6:7], -v[26:27]
	s_mov_b32 s7, 0x3febb67a
	s_mov_b32 s6, s4
	v_fma_f64 v[4:5], s[4:5], v[2:3], v[20:21]
	v_fmac_f64_e32 v[20:21], s[6:7], v[2:3]
	v_add_f64 v[2:3], v[22:23], v[6:7]
	v_add_f64 v[6:7], v[6:7], v[26:27]
	;; [unrolled: 1-line block ×3, first 2 shown]
	v_fmac_f64_e32 v[22:23], -0.5, v[6:7]
	v_add_f64 v[24:25], v[38:39], -v[24:25]
	v_add_f64 v[2:3], v[2:3], v[26:27]
	v_fma_f64 v[6:7], s[6:7], v[24:25], v[22:23]
	v_fmac_f64_e32 v[22:23], s[4:5], v[24:25]
	s_waitcnt lgkmcnt(0)
	; wave barrier
	ds_write_b128 v47, v[0:3]
	ds_write_b128 v47, v[4:7] offset:64
	ds_write_b128 v47, v[20:23] offset:128
	s_waitcnt lgkmcnt(0)
	; wave barrier
	s_waitcnt lgkmcnt(0)
	s_and_saveexec_b64 s[4:5], vcc
	s_cbranch_execz .LBB0_19
; %bb.18:
	ds_read_b128 v[0:3], v45
	ds_read_b128 v[4:7], v45 offset:192
	ds_read_b128 v[20:23], v45 offset:384
	;; [unrolled: 1-line block ×3, first 2 shown]
.LBB0_19:
	s_or_b64 exec, exec, s[4:5]
	s_and_saveexec_b64 s[4:5], vcc
	s_cbranch_execz .LBB0_21
; %bb.20:
	s_waitcnt lgkmcnt(1)
	v_mul_f64 v[24:25], v[18:19], v[20:21]
	v_mul_f64 v[34:35], v[14:15], v[6:7]
	v_fma_f64 v[24:25], v[16:17], v[22:23], -v[24:25]
	v_fmac_f64_e32 v[34:35], v[12:13], v[4:5]
	v_mul_f64 v[4:5], v[14:15], v[4:5]
	v_add_f64 v[26:27], v[2:3], -v[24:25]
	s_waitcnt lgkmcnt(0)
	v_mul_f64 v[24:25], v[10:11], v[30:31]
	v_mul_f64 v[18:19], v[18:19], v[22:23]
	v_fma_f64 v[4:5], v[12:13], v[6:7], -v[4:5]
	v_mul_f64 v[6:7], v[10:11], v[28:29]
	v_fmac_f64_e32 v[24:25], v[8:9], v[28:29]
	v_fmac_f64_e32 v[18:19], v[16:17], v[20:21]
	v_fma_f64 v[6:7], v[8:9], v[30:31], -v[6:7]
	v_add_f64 v[38:39], v[34:35], -v[24:25]
	v_add_f64 v[16:17], v[0:1], -v[18:19]
	;; [unrolled: 1-line block ×3, first 2 shown]
	v_fma_f64 v[8:9], v[2:3], 2.0, -v[26:27]
	v_fma_f64 v[2:3], v[4:5], 2.0, -v[6:7]
	;; [unrolled: 1-line block ×4, first 2 shown]
	v_add_f64 v[2:3], v[8:9], -v[2:3]
	v_add_f64 v[0:1], v[4:5], -v[0:1]
	;; [unrolled: 1-line block ×3, first 2 shown]
	v_add_f64 v[22:23], v[16:17], v[6:7]
	v_fma_f64 v[6:7], v[8:9], 2.0, -v[2:3]
	v_fma_f64 v[4:5], v[4:5], 2.0, -v[0:1]
	;; [unrolled: 1-line block ×4, first 2 shown]
	ds_write_b128 v45, v[4:7]
	v_lshl_add_u32 v4, v37, 4, v44
	ds_write_b128 v4, v[30:33] offset:192
	ds_write_b128 v4, v[0:3] offset:384
	;; [unrolled: 1-line block ×3, first 2 shown]
.LBB0_21:
	s_or_b64 exec, exec, s[4:5]
	s_waitcnt lgkmcnt(0)
	; wave barrier
	s_waitcnt lgkmcnt(0)
	s_and_b64 exec, exec, vcc
	s_cbranch_execz .LBB0_23
; %bb.22:
	global_load_dwordx4 v[0:3], v43, s[12:13]
	global_load_dwordx4 v[4:7], v43, s[12:13] offset:192
	global_load_dwordx4 v[8:11], v43, s[12:13] offset:384
	;; [unrolled: 1-line block ×3, first 2 shown]
	v_mad_u64_u32 v[34:35], s[4:5], s2, v36, 0
	v_mad_u64_u32 v[38:39], s[6:7], s0, v37, 0
	v_mov_b32_e32 v40, v35
	v_lshl_add_u32 v28, v42, 4, v43
	v_mov_b32_e32 v43, 0xc0
	v_mov_b32_e32 v42, v39
	v_mad_u64_u32 v[40:41], s[2:3], s3, v36, v[40:41]
	v_mov_b32_e32 v32, s8
	v_mov_b32_e32 v33, s9
	v_mad_u64_u32 v[36:37], s[2:3], s1, v37, v[42:43]
	v_mov_b32_e32 v35, v40
	v_mov_b32_e32 v39, v36
	v_lshl_add_u64 v[32:33], v[34:35], 4, v[32:33]
	ds_read_b128 v[16:19], v45
	ds_read_b128 v[20:23], v28 offset:192
	ds_read_b128 v[24:27], v28 offset:384
	;; [unrolled: 1-line block ×3, first 2 shown]
	v_lshl_add_u64 v[32:33], v[38:39], 4, v[32:33]
	s_mul_i32 s6, s1, 0xc0
	v_mad_u64_u32 v[34:35], s[2:3], s0, v43, v[32:33]
	v_add_u32_e32 v35, s6, v35
	v_mad_u64_u32 v[36:37], s[2:3], s0, v43, v[34:35]
	s_mov_b32 s4, 0x55555555
	v_add_u32_e32 v37, s6, v37
	s_mov_b32 s5, 0x3f955555
	v_mad_u64_u32 v[38:39], s[0:1], s0, v43, v[36:37]
	v_add_u32_e32 v39, s6, v39
	s_waitcnt vmcnt(3) lgkmcnt(3)
	v_mul_f64 v[40:41], v[18:19], v[2:3]
	v_mul_f64 v[2:3], v[16:17], v[2:3]
	s_waitcnt vmcnt(2) lgkmcnt(2)
	v_mul_f64 v[42:43], v[22:23], v[6:7]
	v_mul_f64 v[6:7], v[20:21], v[6:7]
	;; [unrolled: 3-line block ×4, first 2 shown]
	v_fmac_f64_e32 v[40:41], v[16:17], v[0:1]
	v_fma_f64 v[2:3], v[0:1], v[18:19], -v[2:3]
	v_fmac_f64_e32 v[42:43], v[20:21], v[4:5]
	v_fma_f64 v[6:7], v[4:5], v[22:23], -v[6:7]
	;; [unrolled: 2-line block ×4, first 2 shown]
	v_mul_f64 v[0:1], v[40:41], s[4:5]
	v_mul_f64 v[2:3], v[2:3], s[4:5]
	;; [unrolled: 1-line block ×8, first 2 shown]
	global_store_dwordx4 v[32:33], v[0:3], off
	global_store_dwordx4 v[34:35], v[4:7], off
	;; [unrolled: 1-line block ×4, first 2 shown]
.LBB0_23:
	s_endpgm
	.section	.rodata,"a",@progbits
	.p2align	6, 0x0
	.amdhsa_kernel bluestein_single_back_len48_dim1_dp_op_CI_CI
		.amdhsa_group_segment_fixed_size 3072
		.amdhsa_private_segment_fixed_size 0
		.amdhsa_kernarg_size 104
		.amdhsa_user_sgpr_count 2
		.amdhsa_user_sgpr_dispatch_ptr 0
		.amdhsa_user_sgpr_queue_ptr 0
		.amdhsa_user_sgpr_kernarg_segment_ptr 1
		.amdhsa_user_sgpr_dispatch_id 0
		.amdhsa_user_sgpr_kernarg_preload_length 0
		.amdhsa_user_sgpr_kernarg_preload_offset 0
		.amdhsa_user_sgpr_private_segment_size 0
		.amdhsa_uses_dynamic_stack 0
		.amdhsa_enable_private_segment 0
		.amdhsa_system_sgpr_workgroup_id_x 1
		.amdhsa_system_sgpr_workgroup_id_y 0
		.amdhsa_system_sgpr_workgroup_id_z 0
		.amdhsa_system_sgpr_workgroup_info 0
		.amdhsa_system_vgpr_workitem_id 0
		.amdhsa_next_free_vgpr 77
		.amdhsa_next_free_sgpr 14
		.amdhsa_accum_offset 80
		.amdhsa_reserve_vcc 1
		.amdhsa_float_round_mode_32 0
		.amdhsa_float_round_mode_16_64 0
		.amdhsa_float_denorm_mode_32 3
		.amdhsa_float_denorm_mode_16_64 3
		.amdhsa_dx10_clamp 1
		.amdhsa_ieee_mode 1
		.amdhsa_fp16_overflow 0
		.amdhsa_tg_split 0
		.amdhsa_exception_fp_ieee_invalid_op 0
		.amdhsa_exception_fp_denorm_src 0
		.amdhsa_exception_fp_ieee_div_zero 0
		.amdhsa_exception_fp_ieee_overflow 0
		.amdhsa_exception_fp_ieee_underflow 0
		.amdhsa_exception_fp_ieee_inexact 0
		.amdhsa_exception_int_div_zero 0
	.end_amdhsa_kernel
	.text
.Lfunc_end0:
	.size	bluestein_single_back_len48_dim1_dp_op_CI_CI, .Lfunc_end0-bluestein_single_back_len48_dim1_dp_op_CI_CI
                                        ; -- End function
	.section	.AMDGPU.csdata,"",@progbits
; Kernel info:
; codeLenInByte = 2972
; NumSgprs: 20
; NumVgprs: 77
; NumAgprs: 0
; TotalNumVgprs: 77
; ScratchSize: 0
; MemoryBound: 0
; FloatMode: 240
; IeeeMode: 1
; LDSByteSize: 3072 bytes/workgroup (compile time only)
; SGPRBlocks: 2
; VGPRBlocks: 9
; NumSGPRsForWavesPerEU: 20
; NumVGPRsForWavesPerEU: 77
; AccumOffset: 80
; Occupancy: 6
; WaveLimiterHint : 1
; COMPUTE_PGM_RSRC2:SCRATCH_EN: 0
; COMPUTE_PGM_RSRC2:USER_SGPR: 2
; COMPUTE_PGM_RSRC2:TRAP_HANDLER: 0
; COMPUTE_PGM_RSRC2:TGID_X_EN: 1
; COMPUTE_PGM_RSRC2:TGID_Y_EN: 0
; COMPUTE_PGM_RSRC2:TGID_Z_EN: 0
; COMPUTE_PGM_RSRC2:TIDIG_COMP_CNT: 0
; COMPUTE_PGM_RSRC3_GFX90A:ACCUM_OFFSET: 19
; COMPUTE_PGM_RSRC3_GFX90A:TG_SPLIT: 0
	.text
	.p2alignl 6, 3212836864
	.fill 256, 4, 3212836864
	.type	__hip_cuid_e67a326227fe0b23,@object ; @__hip_cuid_e67a326227fe0b23
	.section	.bss,"aw",@nobits
	.globl	__hip_cuid_e67a326227fe0b23
__hip_cuid_e67a326227fe0b23:
	.byte	0                               ; 0x0
	.size	__hip_cuid_e67a326227fe0b23, 1

	.ident	"AMD clang version 19.0.0git (https://github.com/RadeonOpenCompute/llvm-project roc-6.4.0 25133 c7fe45cf4b819c5991fe208aaa96edf142730f1d)"
	.section	".note.GNU-stack","",@progbits
	.addrsig
	.addrsig_sym __hip_cuid_e67a326227fe0b23
	.amdgpu_metadata
---
amdhsa.kernels:
  - .agpr_count:     0
    .args:
      - .actual_access:  read_only
        .address_space:  global
        .offset:         0
        .size:           8
        .value_kind:     global_buffer
      - .actual_access:  read_only
        .address_space:  global
        .offset:         8
        .size:           8
        .value_kind:     global_buffer
      - .actual_access:  read_only
        .address_space:  global
        .offset:         16
        .size:           8
        .value_kind:     global_buffer
      - .actual_access:  read_only
        .address_space:  global
        .offset:         24
        .size:           8
        .value_kind:     global_buffer
      - .actual_access:  read_only
        .address_space:  global
        .offset:         32
        .size:           8
        .value_kind:     global_buffer
      - .offset:         40
        .size:           8
        .value_kind:     by_value
      - .address_space:  global
        .offset:         48
        .size:           8
        .value_kind:     global_buffer
      - .address_space:  global
        .offset:         56
        .size:           8
        .value_kind:     global_buffer
      - .address_space:  global
        .offset:         64
        .size:           8
        .value_kind:     global_buffer
      - .address_space:  global
        .offset:         72
        .size:           8
        .value_kind:     global_buffer
      - .offset:         80
        .size:           4
        .value_kind:     by_value
      - .address_space:  global
        .offset:         88
        .size:           8
        .value_kind:     global_buffer
      - .address_space:  global
        .offset:         96
        .size:           8
        .value_kind:     global_buffer
    .group_segment_fixed_size: 3072
    .kernarg_segment_align: 8
    .kernarg_segment_size: 104
    .language:       OpenCL C
    .language_version:
      - 2
      - 0
    .max_flat_workgroup_size: 64
    .name:           bluestein_single_back_len48_dim1_dp_op_CI_CI
    .private_segment_fixed_size: 0
    .sgpr_count:     20
    .sgpr_spill_count: 0
    .symbol:         bluestein_single_back_len48_dim1_dp_op_CI_CI.kd
    .uniform_work_group_size: 1
    .uses_dynamic_stack: false
    .vgpr_count:     77
    .vgpr_spill_count: 0
    .wavefront_size: 64
amdhsa.target:   amdgcn-amd-amdhsa--gfx950
amdhsa.version:
  - 1
  - 2
...

	.end_amdgpu_metadata
